;; amdgpu-corpus repo=ROCm/aiter kind=harvested arch=n/a opt=n/a

/root/src/amdgpu-assembly/repos/ROCm__aiter/hsa/gfx942/fmha_v3_bwd/bwd_hd192_dq_convert_bf16_rtz_group.co:	file format elf64-amdgpu

Disassembly of section .text:

0000000000002100 <_ZN5aiter40fmha_bwd_hd192_dq_convert_bf16_rtz_groupE>:
	s_and_b32 s1, s1, 0xffff                                   // 000000002100: 8601FF01 0000FFFF
	s_load_dwordx2 s[12:13], s[0:1], 0x0                       // 000000002108: C0060300 00000000
	s_load_dwordx2 s[16:17], s[0:1], 0x10                      // 000000002110: C0060400 00000010
	s_load_dword s6, s[0:1], 0x20                              // 000000002118: C0020180 00000020
	s_load_dword s8, s[0:1], 0x40                              // 000000002120: C0020200 00000040
	s_load_dword s9, s[0:1], 0x50                              // 000000002128: C0020240 00000050
	s_load_dword s11, s[0:1], 0x70                             // 000000002130: C00202C0 00000070
	s_load_dword s34, s[0:1], 0x90                             // 000000002138: C0020880 00000090
	s_load_dwordx2 s[40:41], s[0:1], 0xa0                      // 000000002140: C0060A00 000000A0
	s_load_dwordx2 s[44:45], s[0:1], 0xb0                      // 000000002148: C0060B00 000000B0
	v_lshrrev_b32_e32 v1, 10, v0                               // 000000002150: 2002008A
	v_lshrrev_b32_e32 v2, 10, v1                               // 000000002154: 2004028A
	v_and_b32_e32 v2, 0x3ff, v2                                // 000000002158: 260404FF 000003FF
	v_and_b32_e32 v1, 0x3ff, v1                                // 000000002160: 260202FF 000003FF
	v_and_b32_e32 v0, 0x3ff, v0                                // 000000002168: 260000FF 000003FF
	v_lshrrev_b32_e32 v3, 6, v0                                // 000000002170: 20060086
	v_and_b32_e32 v0, 63, v0                                   // 000000002174: 260000BF
	s_mov_b32 s2, s2                                           // 000000002178: BE820002
	s_mov_b32 s3, s3                                           // 00000000217C: BE830003
	s_mov_b32 s4, s4                                           // 000000002180: BE840004
	v_readfirstlane_b32 s24, v3                                // 000000002184: 7E300503
	s_waitcnt lgkmcnt(0)                                       // 000000002188: BF8CC07F
	s_mul_i32 s25, s4, 4                                       // 00000000218C: 92198404
	s_add_u32 s40, s25, s40                                    // 000000002190: 80282819
	s_addc_u32 s41, 0, s41                                     // 000000002194: 82292980
	s_load_dwordx2 s[42:43], s[40:41], 0x0                     // 000000002198: C0060A94 00000000
	s_add_u32 s44, s25, s44                                    // 0000000021A0: 802C2C19
	s_addc_u32 s45, 0, s45                                     // 0000000021A4: 822D2D80
	s_load_dword s46, s[44:45], 0x0                            // 0000000021A8: C0020B96 00000000
	s_mov_b32 s15, 0x20000                                     // 0000000021B0: BE8F00FF 00020000
	s_mov_b32 s19, 0x20000                                     // 0000000021B8: BE9300FF 00020000
	s_and_b32 s13, s13, 0xffff                                 // 0000000021C0: 860DFF0D 0000FFFF
	s_and_b32 s17, s17, 0xffff                                 // 0000000021C8: 8611FF11 0000FFFF
	s_or_b32 s13, s13, 0x40000                                 // 0000000021D0: 870DFF0D 00040000
	s_or_b32 s17, s17, 0x40000                                 // 0000000021D8: 8711FF11 00040000
	v_mov_b32_e32 v33, 0                                       // 0000000021E0: 7E420280
	s_mov_b32 s20, s12                                         // 0000000021E4: BE94000C
	s_mov_b32 s21, s13                                         // 0000000021E8: BE95000D
	s_mov_b32 s22, s16                                         // 0000000021EC: BE960010
	s_mov_b32 s23, s17                                         // 0000000021F0: BE970011
	s_waitcnt lgkmcnt(0)                                       // 0000000021F4: BF8CC07F
	s_mul_i32 s25, s2, 64                                      // 0000000021F8: 9219C002
	s_sub_i32 s35, s43, s42                                    // 0000000021FC: 81A32A2B
	s_mov_b32 s42, s46                                         // 000000002200: BEAA002E
	s_cmp_ge_i32 s25, s35                                      // 000000002204: BF032319
	s_cbranch_scc1 label_0357                                  // 000000002208: BF850314
	s_mov_b32 s38, 0x7060302                                   // 00000000220C: BEA600FF 07060302
	s_mul_i32 s25, s8, 64                                      // 000000002214: 9219C008
	s_mul_i32 s25, s2, s25                                     // 000000002218: 92191902
	s_mul_i32 s26, s35, s8                                     // 00000000221C: 921A0823
	s_sub_i32 s26, s26, s25                                    // 000000002220: 819A191A
	s_mov_b32 s14, s26                                         // 000000002224: BE8E001A
	s_add_u32 s12, s25, s20                                    // 000000002228: 800C1419
	s_addc_u32 s13, 0, s21                                     // 00000000222C: 820D1580
	s_mul_i32 s25, s3, s6                                      // 000000002230: 92190603
	s_mul_hi_u32 s26, s3, s6                                   // 000000002234: 961A0603
	s_and_b32 s26, s26, 0xffff                                 // 000000002238: 861AFF1A 0000FFFF
	s_add_u32 s12, s12, s25                                    // 000000002240: 800C190C
	s_addc_u32 s13, s13, s26                                   // 000000002244: 820D1A0D
	s_mul_i32 s25, s42, s8                                     // 000000002248: 9219082A
	s_mul_hi_u32 s26, s42, s8                                  // 00000000224C: 961A082A
	s_and_b32 s26, s26, 0xffff                                 // 000000002250: 861AFF1A 0000FFFF
	s_add_u32 s12, s12, s25                                    // 000000002258: 800C190C
	s_addc_u32 s13, s13, s26                                   // 00000000225C: 820D1A0D
	s_mul_i32 s25, s11, 64                                     // 000000002260: 9219C00B
	s_mul_i32 s25, s2, s25                                     // 000000002264: 92191902
	s_mul_i32 s26, s35, s11                                    // 000000002268: 921A0B23
	s_sub_i32 s26, s26, s25                                    // 00000000226C: 819A191A
	s_mov_b32 s18, s26                                         // 000000002270: BE92001A
	s_add_u32 s16, s25, s22                                    // 000000002274: 80101619
	s_addc_u32 s17, 0, s23                                     // 000000002278: 82111780
	s_mul_i32 s25, s3, s9                                      // 00000000227C: 92190903
	s_mul_hi_u32 s26, s3, s9                                   // 000000002280: 961A0903
	s_and_b32 s26, s26, 0xffff                                 // 000000002284: 861AFF1A 0000FFFF
	s_add_u32 s16, s16, s25                                    // 00000000228C: 80101910
	s_addc_u32 s17, s17, s26                                   // 000000002290: 82111A11
	s_mul_i32 s25, s42, s11                                    // 000000002294: 92190B2A
	s_mul_hi_u32 s26, s42, s11                                 // 000000002298: 961A0B2A
	s_and_b32 s26, s26, 0xffff                                 // 00000000229C: 861AFF1A 0000FFFF
	s_add_u32 s16, s16, s25                                    // 0000000022A4: 80101910
	s_addc_u32 s17, s17, s26                                   // 0000000022A8: 82111A11
	v_readfirstlane_b32 s24, v3                                // 0000000022AC: 7E300503
	v_lshrrev_b32_e32 v26, 4, v0                               // 0000000022B0: 20340084
	v_mul_i32_i24_e32 v26, s8, v26                             // 0000000022B4: 0C343408
	v_and_b32_e32 v27, 15, v0                                  // 0000000022B8: 2636008F
	v_mul_i32_i24_e32 v27, 16, v27                             // 0000000022BC: 0C363690
	v_add_u32_e32 v27, v26, v27                                // 0000000022C0: 6836371A
	v_mov_b32_e32 v4, v27                                      // 0000000022C4: 7E08031B
	s_mul_i32 s25, 16, s8                                      // 0000000022C8: 92190890
	s_mul_i32 s25, s24, s25                                    // 0000000022CC: 92191918
	v_add_u32_e32 v4, s25, v4                                  // 0000000022D0: 68080819
	v_mov_b32_e32 v6, 0                                        // 0000000022D4: 7E0C0280
	v_lshrrev_b32_e32 v26, 5, v0                               // 0000000022D8: 20340085
	v_lshlrev_b32_e32 v26, 1, v26                              // 0000000022DC: 24343481
	v_mul_i32_i24_e32 v26, s11, v26                            // 0000000022E0: 0C34340B
	v_and_b32_e32 v27, 15, v0                                  // 0000000022E4: 2636008F
	v_lshlrev_b32_e32 v27, 3, v27                              // 0000000022E8: 24363683
	v_and_b32_e32 v28, 31, v0                                  // 0000000022EC: 2638009F
	v_lshrrev_b32_e32 v28, 4, v28                              // 0000000022F0: 20383884
	v_lshlrev_b32_e32 v28, 2, v28                              // 0000000022F4: 24383882
	v_add_u32_e32 v6, v26, v6                                  // 0000000022F8: 680C0D1A
	v_add_u32_e32 v6, v27, v6                                  // 0000000022FC: 680C0D1B
	v_add_u32_e32 v6, v28, v6                                  // 000000002300: 680C0D1C
	s_mul_i32 s25, 16, s11                                     // 000000002304: 92190B90
	s_mul_i32 s25, s24, s25                                    // 000000002308: 92191918
	v_add_u32_e32 v6, s25, v6                                  // 00000000230C: 680C0C19
	v_and_b32_e32 v26, 15, v0                                  // 000000002310: 2634008F
	v_lshlrev_b32_e32 v26, 2, v26                              // 000000002314: 24343482
	s_sub_i32 s25, s34, 0x80                                   // 000000002318: 8199FF22 00000080
	v_cmp_lt_u32_e64 s[30:31], v26, s25                        // 000000002320: D0C9001E 0000331A
	v_and_b32_e32 v26, 15, v0                                  // 000000002328: 2634008F
	v_lshrrev_b32_e32 v26, 1, v26                              // 00000000232C: 20343481
	v_lshlrev_b32_e32 v26, 3, v26                              // 000000002330: 24343483
	s_sub_i32 s25, s34, 0x80                                   // 000000002334: 8199FF22 00000080
	v_cmp_lt_u32_e64 s[32:33], v26, s25                        // 00000000233C: D0C90020 0000331A
	v_mov_b32_e32 v30, 0xffff0000                              // 000000002344: 7E3C02FF FFFF0000
	v_mov_b32_e32 v31, 0x7fff0000                              // 00000000234C: 7E3E02FF 7FFF0000
	v_mov_b32_e32 v32, 0x7fff                                  // 000000002354: 7E4002FF 00007FFF
	s_mul_i32 s25, s8, 0                                       // 00000000235C: 92198008
	s_lshl_b32 s25, s25, 2                                     // 000000002360: 8E198219
	v_add_u32_e32 v5, s25, v4                                  // 000000002364: 680A0819
	buffer_load_dwordx4 v[8:11], v5, s[12:15], 0 offen         // 000000002368: E05C1000 80030805
	v_add_u32_e32 v5, 0x100, v5                                // 000000002370: 680A0AFF 00000100
	s_waitcnt vmcnt(0) expcnt(0) lgkmcnt(0)                    // 000000002378: BF8C0000
	s_barrier                                                  // 00000000237C: BF8A0000
	v_perm_b32 v20, v9, v8, s38                                // 000000002380: D1ED0014 009A1109
	v_perm_b32 v21, v11, v10, s38                              // 000000002388: D1ED0015 009A150B
	s_nop 1                                                    // 000000002390: BF800001
	s_mul_i32 s25, s24, 0x100                                  // 000000002394: 9219FF18 00000100
	s_lshl_b32 s25, s25, 2                                     // 00000000239C: 8E198219
	v_mov_b32_e32 v26, v0                                      // 0000000023A0: 7E340300
	v_lshlrev_b32_e32 v26, 2, v26                              // 0000000023A4: 24343482
	v_add_u32_e64 v26, v26, s25                                // 0000000023A8: D134001A 0000331A
	v_add_u32_e32 v27, 0x100, v26                              // 0000000023B0: 683634FF 00000100
	ds_write_b32 v26, v20                                      // 0000000023B8: D81A0000 0000141A
	ds_write_b32 v27, v21                                      // 0000000023C0: D81A0000 0000151B
	s_barrier                                                  // 0000000023C8: BF8A0000
	v_lshrrev_b32_e32 v26, 4, v0                               // 0000000023CC: 20340084
	v_and_b32_e64 v27, v26, 1                                  // 0000000023D0: D113001B 0001031A
	v_lshrrev_b32_e32 v28, 1, v26                              // 0000000023D8: 20383481
	v_lshlrev_b32_e32 v26, 1, v27                              // 0000000023DC: 24343681
	v_add_u32_e32 v26, v26, v28                                // 0000000023E0: 6834391A
	v_lshlrev_b32_e32 v26, 7, v26                              // 0000000023E4: 24343487
	v_and_b32_e64 v27, v0, 15                                  // 0000000023E8: D113001B 00011F00
	v_lshlrev_b32_e32 v27, 2, v27                              // 0000000023F0: 24363682
	v_add_u32_e32 v26, v27, v26                                // 0000000023F4: 6834351B
	v_add_u32_e64 v26, v26, s25                                // 0000000023F8: D134001A 0000331A
	v_add_u32_e32 v27, 64, v26                                 // 000000002400: 683634C0
	ds_read_b32 v20, v26                                       // 000000002404: D86C0000 1400001A
	ds_read_b32 v21, v27                                       // 00000000240C: D86C0000 1500001B
	s_barrier                                                  // 000000002414: BF8A0000
	s_nop 1                                                    // 000000002418: BF800001
	s_mul_i32 s25, s11, 0                                      // 00000000241C: 9219800B
	s_lshl_b32 s25, s25, 2                                     // 000000002420: 8E198219
	s_lshl_b32 s26, 0, 7                                       // 000000002424: 8E1A8780
	v_add_u32_e32 v7, s25, v6                                  // 000000002428: 680E0C19
	v_add_u32_e32 v7, s26, v7                                  // 00000000242C: 680E0E1A
	buffer_store_dword v20, v7, s[16:19], 0 offen              // 000000002430: E0701000 80041407
	v_add_u32_e32 v7, s11, v7                                  // 000000002438: 680E0E0B
	buffer_store_dword v21, v7, s[16:19], 0 offen              // 00000000243C: E0701000 80041507
	buffer_load_dwordx4 v[12:15], v5, s[12:15], 0 offen        // 000000002444: E05C1000 80030C05
	v_add_u32_e32 v5, 0x100, v5                                // 00000000244C: 680A0AFF 00000100
	s_waitcnt vmcnt(0) expcnt(0) lgkmcnt(0)                    // 000000002454: BF8C0000
	s_barrier                                                  // 000000002458: BF8A0000
	v_perm_b32 v22, v13, v12, s38                              // 00000000245C: D1ED0016 009A190D
	v_perm_b32 v23, v15, v14, s38                              // 000000002464: D1ED0017 009A1D0F
	s_nop 1                                                    // 00000000246C: BF800001
	s_mul_i32 s25, s24, 0x100                                  // 000000002470: 9219FF18 00000100
	s_lshl_b32 s25, s25, 2                                     // 000000002478: 8E198219
	v_mov_b32_e32 v26, v0                                      // 00000000247C: 7E340300
	v_lshlrev_b32_e32 v26, 2, v26                              // 000000002480: 24343482
	v_add_u32_e64 v26, v26, s25                                // 000000002484: D134001A 0000331A
	v_add_u32_e32 v27, 0x100, v26                              // 00000000248C: 683634FF 00000100
	ds_write_b32 v26, v22                                      // 000000002494: D81A0000 0000161A
	ds_write_b32 v27, v23                                      // 00000000249C: D81A0000 0000171B
	s_barrier                                                  // 0000000024A4: BF8A0000
	v_lshrrev_b32_e32 v26, 4, v0                               // 0000000024A8: 20340084
	v_and_b32_e64 v27, v26, 1                                  // 0000000024AC: D113001B 0001031A
	v_lshrrev_b32_e32 v28, 1, v26                              // 0000000024B4: 20383481
	v_lshlrev_b32_e32 v26, 1, v27                              // 0000000024B8: 24343681
	v_add_u32_e32 v26, v26, v28                                // 0000000024BC: 6834391A
	v_lshlrev_b32_e32 v26, 7, v26                              // 0000000024C0: 24343487
	v_and_b32_e64 v27, v0, 15                                  // 0000000024C4: D113001B 00011F00
	v_lshlrev_b32_e32 v27, 2, v27                              // 0000000024CC: 24363682
	v_add_u32_e32 v26, v27, v26                                // 0000000024D0: 6834351B
	v_add_u32_e64 v26, v26, s25                                // 0000000024D4: D134001A 0000331A
	v_add_u32_e32 v27, 64, v26                                 // 0000000024DC: 683634C0
	ds_read_b32 v22, v26                                       // 0000000024E0: D86C0000 1600001A
	ds_read_b32 v23, v27                                       // 0000000024E8: D86C0000 1700001B
	s_barrier                                                  // 0000000024F0: BF8A0000
	s_nop 1                                                    // 0000000024F4: BF800001
	s_mul_i32 s25, s11, 0                                      // 0000000024F8: 9219800B
	s_lshl_b32 s25, s25, 2                                     // 0000000024FC: 8E198219
	s_lshl_b32 s26, 1, 7                                       // 000000002500: 8E1A8781
	v_add_u32_e32 v7, s25, v6                                  // 000000002504: 680E0C19
	v_add_u32_e32 v7, s26, v7                                  // 000000002508: 680E0E1A
	buffer_store_dword v22, v7, s[16:19], 0 offen              // 00000000250C: E0701000 80041607
	v_add_u32_e32 v7, s11, v7                                  // 000000002514: 680E0E0B
	buffer_store_dword v23, v7, s[16:19], 0 offen              // 000000002518: E0701000 80041707
	v_mov_b32_e32 v16, 0                                       // 000000002520: 7E200280
	v_mov_b32_e32 v17, 0                                       // 000000002524: 7E220280
	v_mov_b32_e32 v18, 0                                       // 000000002528: 7E240280
	v_mov_b32_e32 v19, 0                                       // 00000000252C: 7E260280
	s_mov_b64 exec, s[30:31]                                   // 000000002530: BEFE011E
	buffer_load_dwordx4 v[16:19], v5, s[12:15], 0 offen        // 000000002534: E05C1000 80031005
	s_mov_b64 exec, -1                                         // 00000000253C: BEFE01C1
	v_add_u32_e32 v5, 0x100, v5                                // 000000002540: 680A0AFF 00000100
	s_waitcnt vmcnt(0) expcnt(0) lgkmcnt(0)                    // 000000002548: BF8C0000
	s_barrier                                                  // 00000000254C: BF8A0000
	v_perm_b32 v24, v17, v16, s38                              // 000000002550: D1ED0018 009A2111
	v_perm_b32 v25, v19, v18, s38                              // 000000002558: D1ED0019 009A2513
	s_nop 1                                                    // 000000002560: BF800001
	s_mul_i32 s25, s24, 0x100                                  // 000000002564: 9219FF18 00000100
	s_lshl_b32 s25, s25, 2                                     // 00000000256C: 8E198219
	v_mov_b32_e32 v26, v0                                      // 000000002570: 7E340300
	v_lshlrev_b32_e32 v26, 2, v26                              // 000000002574: 24343482
	v_add_u32_e64 v26, v26, s25                                // 000000002578: D134001A 0000331A
	v_add_u32_e32 v27, 0x100, v26                              // 000000002580: 683634FF 00000100
	ds_write_b32 v26, v24                                      // 000000002588: D81A0000 0000181A
	ds_write_b32 v27, v25                                      // 000000002590: D81A0000 0000191B
	s_barrier                                                  // 000000002598: BF8A0000
	v_lshrrev_b32_e32 v26, 4, v0                               // 00000000259C: 20340084
	v_and_b32_e64 v27, v26, 1                                  // 0000000025A0: D113001B 0001031A
	v_lshrrev_b32_e32 v28, 1, v26                              // 0000000025A8: 20383481
	v_lshlrev_b32_e32 v26, 1, v27                              // 0000000025AC: 24343681
	v_add_u32_e32 v26, v26, v28                                // 0000000025B0: 6834391A
	v_lshlrev_b32_e32 v26, 7, v26                              // 0000000025B4: 24343487
	v_and_b32_e64 v27, v0, 15                                  // 0000000025B8: D113001B 00011F00
	v_lshlrev_b32_e32 v27, 2, v27                              // 0000000025C0: 24363682
	v_add_u32_e32 v26, v27, v26                                // 0000000025C4: 6834351B
	v_add_u32_e64 v26, v26, s25                                // 0000000025C8: D134001A 0000331A
	v_add_u32_e32 v27, 64, v26                                 // 0000000025D0: 683634C0
	ds_read_b32 v24, v26                                       // 0000000025D4: D86C0000 1800001A
	ds_read_b32 v25, v27                                       // 0000000025DC: D86C0000 1900001B
	s_barrier                                                  // 0000000025E4: BF8A0000
	s_nop 1                                                    // 0000000025E8: BF800001
	s_mul_i32 s25, s11, 0                                      // 0000000025EC: 9219800B
	s_lshl_b32 s25, s25, 2                                     // 0000000025F0: 8E198219
	s_lshl_b32 s26, 2, 7                                       // 0000000025F4: 8E1A8782
	v_add_u32_e32 v7, s25, v6                                  // 0000000025F8: 680E0C19
	v_add_u32_e32 v7, s26, v7                                  // 0000000025FC: 680E0E1A
	s_mov_b64 exec, s[32:33]                                   // 000000002600: BEFE0120
	buffer_store_dword v24, v7, s[16:19], 0 offen              // 000000002604: E0701000 80041807
	v_add_u32_e32 v7, s11, v7                                  // 00000000260C: 680E0E0B
	buffer_store_dword v25, v7, s[16:19], 0 offen              // 000000002610: E0701000 80041907
	s_mov_b64 exec, -1                                         // 000000002618: BEFE01C1
	s_mul_i32 s25, s8, 1                                       // 00000000261C: 92198108
	s_lshl_b32 s25, s25, 2                                     // 000000002620: 8E198219
	v_add_u32_e32 v5, s25, v4                                  // 000000002624: 680A0819
	buffer_load_dwordx4 v[8:11], v5, s[12:15], 0 offen         // 000000002628: E05C1000 80030805
	v_add_u32_e32 v5, 0x100, v5                                // 000000002630: 680A0AFF 00000100
	s_waitcnt vmcnt(0) expcnt(0) lgkmcnt(0)                    // 000000002638: BF8C0000
	s_barrier                                                  // 00000000263C: BF8A0000
	v_perm_b32 v20, v9, v8, s38                                // 000000002640: D1ED0014 009A1109
	v_perm_b32 v21, v11, v10, s38                              // 000000002648: D1ED0015 009A150B
	s_nop 1                                                    // 000000002650: BF800001
	s_mul_i32 s25, s24, 0x100                                  // 000000002654: 9219FF18 00000100
	s_lshl_b32 s25, s25, 2                                     // 00000000265C: 8E198219
	v_mov_b32_e32 v26, v0                                      // 000000002660: 7E340300
	v_lshlrev_b32_e32 v26, 2, v26                              // 000000002664: 24343482
	v_add_u32_e64 v26, v26, s25                                // 000000002668: D134001A 0000331A
	v_add_u32_e32 v27, 0x100, v26                              // 000000002670: 683634FF 00000100
	ds_write_b32 v26, v20                                      // 000000002678: D81A0000 0000141A
	ds_write_b32 v27, v21                                      // 000000002680: D81A0000 0000151B
	s_barrier                                                  // 000000002688: BF8A0000
	v_lshrrev_b32_e32 v26, 4, v0                               // 00000000268C: 20340084
	v_and_b32_e64 v27, v26, 1                                  // 000000002690: D113001B 0001031A
	v_lshrrev_b32_e32 v28, 1, v26                              // 000000002698: 20383481
	v_lshlrev_b32_e32 v26, 1, v27                              // 00000000269C: 24343681
	v_add_u32_e32 v26, v26, v28                                // 0000000026A0: 6834391A
	v_lshlrev_b32_e32 v26, 7, v26                              // 0000000026A4: 24343487
	v_and_b32_e64 v27, v0, 15                                  // 0000000026A8: D113001B 00011F00
	v_lshlrev_b32_e32 v27, 2, v27                              // 0000000026B0: 24363682
	v_add_u32_e32 v26, v27, v26                                // 0000000026B4: 6834351B
	v_add_u32_e64 v26, v26, s25                                // 0000000026B8: D134001A 0000331A
	v_add_u32_e32 v27, 64, v26                                 // 0000000026C0: 683634C0
	ds_read_b32 v20, v26                                       // 0000000026C4: D86C0000 1400001A
	ds_read_b32 v21, v27                                       // 0000000026CC: D86C0000 1500001B
	s_barrier                                                  // 0000000026D4: BF8A0000
	s_nop 1                                                    // 0000000026D8: BF800001
	s_mul_i32 s25, s11, 1                                      // 0000000026DC: 9219810B
	s_lshl_b32 s25, s25, 2                                     // 0000000026E0: 8E198219
	s_lshl_b32 s26, 0, 7                                       // 0000000026E4: 8E1A8780
	v_add_u32_e32 v7, s25, v6                                  // 0000000026E8: 680E0C19
	v_add_u32_e32 v7, s26, v7                                  // 0000000026EC: 680E0E1A
	buffer_store_dword v20, v7, s[16:19], 0 offen              // 0000000026F0: E0701000 80041407
	v_add_u32_e32 v7, s11, v7                                  // 0000000026F8: 680E0E0B
	buffer_store_dword v21, v7, s[16:19], 0 offen              // 0000000026FC: E0701000 80041507
	buffer_load_dwordx4 v[12:15], v5, s[12:15], 0 offen        // 000000002704: E05C1000 80030C05
	v_add_u32_e32 v5, 0x100, v5                                // 00000000270C: 680A0AFF 00000100
	s_waitcnt vmcnt(0) expcnt(0) lgkmcnt(0)                    // 000000002714: BF8C0000
	s_barrier                                                  // 000000002718: BF8A0000
	v_perm_b32 v22, v13, v12, s38                              // 00000000271C: D1ED0016 009A190D
	v_perm_b32 v23, v15, v14, s38                              // 000000002724: D1ED0017 009A1D0F
	s_nop 1                                                    // 00000000272C: BF800001
	s_mul_i32 s25, s24, 0x100                                  // 000000002730: 9219FF18 00000100
	s_lshl_b32 s25, s25, 2                                     // 000000002738: 8E198219
	v_mov_b32_e32 v26, v0                                      // 00000000273C: 7E340300
	v_lshlrev_b32_e32 v26, 2, v26                              // 000000002740: 24343482
	v_add_u32_e64 v26, v26, s25                                // 000000002744: D134001A 0000331A
	v_add_u32_e32 v27, 0x100, v26                              // 00000000274C: 683634FF 00000100
	ds_write_b32 v26, v22                                      // 000000002754: D81A0000 0000161A
	ds_write_b32 v27, v23                                      // 00000000275C: D81A0000 0000171B
	s_barrier                                                  // 000000002764: BF8A0000
	v_lshrrev_b32_e32 v26, 4, v0                               // 000000002768: 20340084
	v_and_b32_e64 v27, v26, 1                                  // 00000000276C: D113001B 0001031A
	v_lshrrev_b32_e32 v28, 1, v26                              // 000000002774: 20383481
	v_lshlrev_b32_e32 v26, 1, v27                              // 000000002778: 24343681
	v_add_u32_e32 v26, v26, v28                                // 00000000277C: 6834391A
	v_lshlrev_b32_e32 v26, 7, v26                              // 000000002780: 24343487
	v_and_b32_e64 v27, v0, 15                                  // 000000002784: D113001B 00011F00
	v_lshlrev_b32_e32 v27, 2, v27                              // 00000000278C: 24363682
	v_add_u32_e32 v26, v27, v26                                // 000000002790: 6834351B
	v_add_u32_e64 v26, v26, s25                                // 000000002794: D134001A 0000331A
	v_add_u32_e32 v27, 64, v26                                 // 00000000279C: 683634C0
	ds_read_b32 v22, v26                                       // 0000000027A0: D86C0000 1600001A
	ds_read_b32 v23, v27                                       // 0000000027A8: D86C0000 1700001B
	s_barrier                                                  // 0000000027B0: BF8A0000
	s_nop 1                                                    // 0000000027B4: BF800001
	s_mul_i32 s25, s11, 1                                      // 0000000027B8: 9219810B
	s_lshl_b32 s25, s25, 2                                     // 0000000027BC: 8E198219
	s_lshl_b32 s26, 1, 7                                       // 0000000027C0: 8E1A8781
	v_add_u32_e32 v7, s25, v6                                  // 0000000027C4: 680E0C19
	v_add_u32_e32 v7, s26, v7                                  // 0000000027C8: 680E0E1A
	buffer_store_dword v22, v7, s[16:19], 0 offen              // 0000000027CC: E0701000 80041607
	v_add_u32_e32 v7, s11, v7                                  // 0000000027D4: 680E0E0B
	buffer_store_dword v23, v7, s[16:19], 0 offen              // 0000000027D8: E0701000 80041707
	v_mov_b32_e32 v16, 0                                       // 0000000027E0: 7E200280
	v_mov_b32_e32 v17, 0                                       // 0000000027E4: 7E220280
	v_mov_b32_e32 v18, 0                                       // 0000000027E8: 7E240280
	v_mov_b32_e32 v19, 0                                       // 0000000027EC: 7E260280
	s_mov_b64 exec, s[30:31]                                   // 0000000027F0: BEFE011E
	buffer_load_dwordx4 v[16:19], v5, s[12:15], 0 offen        // 0000000027F4: E05C1000 80031005
	s_mov_b64 exec, -1                                         // 0000000027FC: BEFE01C1
	v_add_u32_e32 v5, 0x100, v5                                // 000000002800: 680A0AFF 00000100
	s_waitcnt vmcnt(0) expcnt(0) lgkmcnt(0)                    // 000000002808: BF8C0000
	s_barrier                                                  // 00000000280C: BF8A0000
	v_perm_b32 v24, v17, v16, s38                              // 000000002810: D1ED0018 009A2111
	v_perm_b32 v25, v19, v18, s38                              // 000000002818: D1ED0019 009A2513
	s_nop 1                                                    // 000000002820: BF800001
	s_mul_i32 s25, s24, 0x100                                  // 000000002824: 9219FF18 00000100
	s_lshl_b32 s25, s25, 2                                     // 00000000282C: 8E198219
	v_mov_b32_e32 v26, v0                                      // 000000002830: 7E340300
	v_lshlrev_b32_e32 v26, 2, v26                              // 000000002834: 24343482
	v_add_u32_e64 v26, v26, s25                                // 000000002838: D134001A 0000331A
	v_add_u32_e32 v27, 0x100, v26                              // 000000002840: 683634FF 00000100
	ds_write_b32 v26, v24                                      // 000000002848: D81A0000 0000181A
	ds_write_b32 v27, v25                                      // 000000002850: D81A0000 0000191B
	s_barrier                                                  // 000000002858: BF8A0000
	v_lshrrev_b32_e32 v26, 4, v0                               // 00000000285C: 20340084
	v_and_b32_e64 v27, v26, 1                                  // 000000002860: D113001B 0001031A
	v_lshrrev_b32_e32 v28, 1, v26                              // 000000002868: 20383481
	v_lshlrev_b32_e32 v26, 1, v27                              // 00000000286C: 24343681
	v_add_u32_e32 v26, v26, v28                                // 000000002870: 6834391A
	v_lshlrev_b32_e32 v26, 7, v26                              // 000000002874: 24343487
	v_and_b32_e64 v27, v0, 15                                  // 000000002878: D113001B 00011F00
	v_lshlrev_b32_e32 v27, 2, v27                              // 000000002880: 24363682
	v_add_u32_e32 v26, v27, v26                                // 000000002884: 6834351B
	v_add_u32_e64 v26, v26, s25                                // 000000002888: D134001A 0000331A
	v_add_u32_e32 v27, 64, v26                                 // 000000002890: 683634C0
	ds_read_b32 v24, v26                                       // 000000002894: D86C0000 1800001A
	ds_read_b32 v25, v27                                       // 00000000289C: D86C0000 1900001B
	s_barrier                                                  // 0000000028A4: BF8A0000
	s_nop 1                                                    // 0000000028A8: BF800001
	s_mul_i32 s25, s11, 1                                      // 0000000028AC: 9219810B
	s_lshl_b32 s25, s25, 2                                     // 0000000028B0: 8E198219
	s_lshl_b32 s26, 2, 7                                       // 0000000028B4: 8E1A8782
	v_add_u32_e32 v7, s25, v6                                  // 0000000028B8: 680E0C19
	v_add_u32_e32 v7, s26, v7                                  // 0000000028BC: 680E0E1A
	s_mov_b64 exec, s[32:33]                                   // 0000000028C0: BEFE0120
	buffer_store_dword v24, v7, s[16:19], 0 offen              // 0000000028C4: E0701000 80041807
	v_add_u32_e32 v7, s11, v7                                  // 0000000028CC: 680E0E0B
	buffer_store_dword v25, v7, s[16:19], 0 offen              // 0000000028D0: E0701000 80041907
	s_mov_b64 exec, -1                                         // 0000000028D8: BEFE01C1
	s_mul_i32 s25, s8, 2                                       // 0000000028DC: 92198208
	s_lshl_b32 s25, s25, 2                                     // 0000000028E0: 8E198219
	v_add_u32_e32 v5, s25, v4                                  // 0000000028E4: 680A0819
	buffer_load_dwordx4 v[8:11], v5, s[12:15], 0 offen         // 0000000028E8: E05C1000 80030805
	v_add_u32_e32 v5, 0x100, v5                                // 0000000028F0: 680A0AFF 00000100
	s_waitcnt vmcnt(0) expcnt(0) lgkmcnt(0)                    // 0000000028F8: BF8C0000
	s_barrier                                                  // 0000000028FC: BF8A0000
	v_perm_b32 v20, v9, v8, s38                                // 000000002900: D1ED0014 009A1109
	v_perm_b32 v21, v11, v10, s38                              // 000000002908: D1ED0015 009A150B
	s_nop 1                                                    // 000000002910: BF800001
	s_mul_i32 s25, s24, 0x100                                  // 000000002914: 9219FF18 00000100
	s_lshl_b32 s25, s25, 2                                     // 00000000291C: 8E198219
	v_mov_b32_e32 v26, v0                                      // 000000002920: 7E340300
	v_lshlrev_b32_e32 v26, 2, v26                              // 000000002924: 24343482
	v_add_u32_e64 v26, v26, s25                                // 000000002928: D134001A 0000331A
	v_add_u32_e32 v27, 0x100, v26                              // 000000002930: 683634FF 00000100
	ds_write_b32 v26, v20                                      // 000000002938: D81A0000 0000141A
	ds_write_b32 v27, v21                                      // 000000002940: D81A0000 0000151B
	s_barrier                                                  // 000000002948: BF8A0000
	v_lshrrev_b32_e32 v26, 4, v0                               // 00000000294C: 20340084
	v_and_b32_e64 v27, v26, 1                                  // 000000002950: D113001B 0001031A
	v_lshrrev_b32_e32 v28, 1, v26                              // 000000002958: 20383481
	v_lshlrev_b32_e32 v26, 1, v27                              // 00000000295C: 24343681
	v_add_u32_e32 v26, v26, v28                                // 000000002960: 6834391A
	v_lshlrev_b32_e32 v26, 7, v26                              // 000000002964: 24343487
	v_and_b32_e64 v27, v0, 15                                  // 000000002968: D113001B 00011F00
	v_lshlrev_b32_e32 v27, 2, v27                              // 000000002970: 24363682
	v_add_u32_e32 v26, v27, v26                                // 000000002974: 6834351B
	v_add_u32_e64 v26, v26, s25                                // 000000002978: D134001A 0000331A
	v_add_u32_e32 v27, 64, v26                                 // 000000002980: 683634C0
	ds_read_b32 v20, v26                                       // 000000002984: D86C0000 1400001A
	ds_read_b32 v21, v27                                       // 00000000298C: D86C0000 1500001B
	s_barrier                                                  // 000000002994: BF8A0000
	s_nop 1                                                    // 000000002998: BF800001
	s_mul_i32 s25, s11, 2                                      // 00000000299C: 9219820B
	s_lshl_b32 s25, s25, 2                                     // 0000000029A0: 8E198219
	s_lshl_b32 s26, 0, 7                                       // 0000000029A4: 8E1A8780
	v_add_u32_e32 v7, s25, v6                                  // 0000000029A8: 680E0C19
	v_add_u32_e32 v7, s26, v7                                  // 0000000029AC: 680E0E1A
	buffer_store_dword v20, v7, s[16:19], 0 offen              // 0000000029B0: E0701000 80041407
	v_add_u32_e32 v7, s11, v7                                  // 0000000029B8: 680E0E0B
	buffer_store_dword v21, v7, s[16:19], 0 offen              // 0000000029BC: E0701000 80041507
	buffer_load_dwordx4 v[12:15], v5, s[12:15], 0 offen        // 0000000029C4: E05C1000 80030C05
	v_add_u32_e32 v5, 0x100, v5                                // 0000000029CC: 680A0AFF 00000100
	s_waitcnt vmcnt(0) expcnt(0) lgkmcnt(0)                    // 0000000029D4: BF8C0000
	s_barrier                                                  // 0000000029D8: BF8A0000
	v_perm_b32 v22, v13, v12, s38                              // 0000000029DC: D1ED0016 009A190D
	v_perm_b32 v23, v15, v14, s38                              // 0000000029E4: D1ED0017 009A1D0F
	s_nop 1                                                    // 0000000029EC: BF800001
	s_mul_i32 s25, s24, 0x100                                  // 0000000029F0: 9219FF18 00000100
	s_lshl_b32 s25, s25, 2                                     // 0000000029F8: 8E198219
	v_mov_b32_e32 v26, v0                                      // 0000000029FC: 7E340300
	v_lshlrev_b32_e32 v26, 2, v26                              // 000000002A00: 24343482
	v_add_u32_e64 v26, v26, s25                                // 000000002A04: D134001A 0000331A
	v_add_u32_e32 v27, 0x100, v26                              // 000000002A0C: 683634FF 00000100
	ds_write_b32 v26, v22                                      // 000000002A14: D81A0000 0000161A
	ds_write_b32 v27, v23                                      // 000000002A1C: D81A0000 0000171B
	s_barrier                                                  // 000000002A24: BF8A0000
	v_lshrrev_b32_e32 v26, 4, v0                               // 000000002A28: 20340084
	v_and_b32_e64 v27, v26, 1                                  // 000000002A2C: D113001B 0001031A
	v_lshrrev_b32_e32 v28, 1, v26                              // 000000002A34: 20383481
	v_lshlrev_b32_e32 v26, 1, v27                              // 000000002A38: 24343681
	v_add_u32_e32 v26, v26, v28                                // 000000002A3C: 6834391A
	v_lshlrev_b32_e32 v26, 7, v26                              // 000000002A40: 24343487
	v_and_b32_e64 v27, v0, 15                                  // 000000002A44: D113001B 00011F00
	v_lshlrev_b32_e32 v27, 2, v27                              // 000000002A4C: 24363682
	v_add_u32_e32 v26, v27, v26                                // 000000002A50: 6834351B
	v_add_u32_e64 v26, v26, s25                                // 000000002A54: D134001A 0000331A
	v_add_u32_e32 v27, 64, v26                                 // 000000002A5C: 683634C0
	ds_read_b32 v22, v26                                       // 000000002A60: D86C0000 1600001A
	ds_read_b32 v23, v27                                       // 000000002A68: D86C0000 1700001B
	s_barrier                                                  // 000000002A70: BF8A0000
	s_nop 1                                                    // 000000002A74: BF800001
	s_mul_i32 s25, s11, 2                                      // 000000002A78: 9219820B
	s_lshl_b32 s25, s25, 2                                     // 000000002A7C: 8E198219
	s_lshl_b32 s26, 1, 7                                       // 000000002A80: 8E1A8781
	v_add_u32_e32 v7, s25, v6                                  // 000000002A84: 680E0C19
	v_add_u32_e32 v7, s26, v7                                  // 000000002A88: 680E0E1A
	buffer_store_dword v22, v7, s[16:19], 0 offen              // 000000002A8C: E0701000 80041607
	v_add_u32_e32 v7, s11, v7                                  // 000000002A94: 680E0E0B
	buffer_store_dword v23, v7, s[16:19], 0 offen              // 000000002A98: E0701000 80041707
	v_mov_b32_e32 v16, 0                                       // 000000002AA0: 7E200280
	v_mov_b32_e32 v17, 0                                       // 000000002AA4: 7E220280
	v_mov_b32_e32 v18, 0                                       // 000000002AA8: 7E240280
	v_mov_b32_e32 v19, 0                                       // 000000002AAC: 7E260280
	s_mov_b64 exec, s[30:31]                                   // 000000002AB0: BEFE011E
	buffer_load_dwordx4 v[16:19], v5, s[12:15], 0 offen        // 000000002AB4: E05C1000 80031005
	s_mov_b64 exec, -1                                         // 000000002ABC: BEFE01C1
	v_add_u32_e32 v5, 0x100, v5                                // 000000002AC0: 680A0AFF 00000100
	s_waitcnt vmcnt(0) expcnt(0) lgkmcnt(0)                    // 000000002AC8: BF8C0000
	s_barrier                                                  // 000000002ACC: BF8A0000
	v_perm_b32 v24, v17, v16, s38                              // 000000002AD0: D1ED0018 009A2111
	v_perm_b32 v25, v19, v18, s38                              // 000000002AD8: D1ED0019 009A2513
	s_nop 1                                                    // 000000002AE0: BF800001
	s_mul_i32 s25, s24, 0x100                                  // 000000002AE4: 9219FF18 00000100
	s_lshl_b32 s25, s25, 2                                     // 000000002AEC: 8E198219
	v_mov_b32_e32 v26, v0                                      // 000000002AF0: 7E340300
	v_lshlrev_b32_e32 v26, 2, v26                              // 000000002AF4: 24343482
	v_add_u32_e64 v26, v26, s25                                // 000000002AF8: D134001A 0000331A
	v_add_u32_e32 v27, 0x100, v26                              // 000000002B00: 683634FF 00000100
	ds_write_b32 v26, v24                                      // 000000002B08: D81A0000 0000181A
	ds_write_b32 v27, v25                                      // 000000002B10: D81A0000 0000191B
	s_barrier                                                  // 000000002B18: BF8A0000
	v_lshrrev_b32_e32 v26, 4, v0                               // 000000002B1C: 20340084
	v_and_b32_e64 v27, v26, 1                                  // 000000002B20: D113001B 0001031A
	v_lshrrev_b32_e32 v28, 1, v26                              // 000000002B28: 20383481
	v_lshlrev_b32_e32 v26, 1, v27                              // 000000002B2C: 24343681
	v_add_u32_e32 v26, v26, v28                                // 000000002B30: 6834391A
	v_lshlrev_b32_e32 v26, 7, v26                              // 000000002B34: 24343487
	v_and_b32_e64 v27, v0, 15                                  // 000000002B38: D113001B 00011F00
	v_lshlrev_b32_e32 v27, 2, v27                              // 000000002B40: 24363682
	v_add_u32_e32 v26, v27, v26                                // 000000002B44: 6834351B
	v_add_u32_e64 v26, v26, s25                                // 000000002B48: D134001A 0000331A
	v_add_u32_e32 v27, 64, v26                                 // 000000002B50: 683634C0
	ds_read_b32 v24, v26                                       // 000000002B54: D86C0000 1800001A
	ds_read_b32 v25, v27                                       // 000000002B5C: D86C0000 1900001B
	s_barrier                                                  // 000000002B64: BF8A0000
	s_nop 1                                                    // 000000002B68: BF800001
	s_mul_i32 s25, s11, 2                                      // 000000002B6C: 9219820B
	s_lshl_b32 s25, s25, 2                                     // 000000002B70: 8E198219
	s_lshl_b32 s26, 2, 7                                       // 000000002B74: 8E1A8782
	v_add_u32_e32 v7, s25, v6                                  // 000000002B78: 680E0C19
	v_add_u32_e32 v7, s26, v7                                  // 000000002B7C: 680E0E1A
	s_mov_b64 exec, s[32:33]                                   // 000000002B80: BEFE0120
	buffer_store_dword v24, v7, s[16:19], 0 offen              // 000000002B84: E0701000 80041807
	v_add_u32_e32 v7, s11, v7                                  // 000000002B8C: 680E0E0B
	buffer_store_dword v25, v7, s[16:19], 0 offen              // 000000002B90: E0701000 80041907
	s_mov_b64 exec, -1                                         // 000000002B98: BEFE01C1
	s_mul_i32 s25, s8, 3                                       // 000000002B9C: 92198308
	s_lshl_b32 s25, s25, 2                                     // 000000002BA0: 8E198219
	v_add_u32_e32 v5, s25, v4                                  // 000000002BA4: 680A0819
	buffer_load_dwordx4 v[8:11], v5, s[12:15], 0 offen         // 000000002BA8: E05C1000 80030805
	v_add_u32_e32 v5, 0x100, v5                                // 000000002BB0: 680A0AFF 00000100
	s_waitcnt vmcnt(0) expcnt(0) lgkmcnt(0)                    // 000000002BB8: BF8C0000
	s_barrier                                                  // 000000002BBC: BF8A0000
	v_perm_b32 v20, v9, v8, s38                                // 000000002BC0: D1ED0014 009A1109
	v_perm_b32 v21, v11, v10, s38                              // 000000002BC8: D1ED0015 009A150B
	s_nop 1                                                    // 000000002BD0: BF800001
	s_mul_i32 s25, s24, 0x100                                  // 000000002BD4: 9219FF18 00000100
	s_lshl_b32 s25, s25, 2                                     // 000000002BDC: 8E198219
	v_mov_b32_e32 v26, v0                                      // 000000002BE0: 7E340300
	v_lshlrev_b32_e32 v26, 2, v26                              // 000000002BE4: 24343482
	v_add_u32_e64 v26, v26, s25                                // 000000002BE8: D134001A 0000331A
	v_add_u32_e32 v27, 0x100, v26                              // 000000002BF0: 683634FF 00000100
	ds_write_b32 v26, v20                                      // 000000002BF8: D81A0000 0000141A
	ds_write_b32 v27, v21                                      // 000000002C00: D81A0000 0000151B
	s_barrier                                                  // 000000002C08: BF8A0000
	v_lshrrev_b32_e32 v26, 4, v0                               // 000000002C0C: 20340084
	v_and_b32_e64 v27, v26, 1                                  // 000000002C10: D113001B 0001031A
	v_lshrrev_b32_e32 v28, 1, v26                              // 000000002C18: 20383481
	v_lshlrev_b32_e32 v26, 1, v27                              // 000000002C1C: 24343681
	v_add_u32_e32 v26, v26, v28                                // 000000002C20: 6834391A
	v_lshlrev_b32_e32 v26, 7, v26                              // 000000002C24: 24343487
	v_and_b32_e64 v27, v0, 15                                  // 000000002C28: D113001B 00011F00
	v_lshlrev_b32_e32 v27, 2, v27                              // 000000002C30: 24363682
	v_add_u32_e32 v26, v27, v26                                // 000000002C34: 6834351B
	v_add_u32_e64 v26, v26, s25                                // 000000002C38: D134001A 0000331A
	v_add_u32_e32 v27, 64, v26                                 // 000000002C40: 683634C0
	ds_read_b32 v20, v26                                       // 000000002C44: D86C0000 1400001A
	ds_read_b32 v21, v27                                       // 000000002C4C: D86C0000 1500001B
	s_barrier                                                  // 000000002C54: BF8A0000
	s_nop 1                                                    // 000000002C58: BF800001
	s_mul_i32 s25, s11, 3                                      // 000000002C5C: 9219830B
	s_lshl_b32 s25, s25, 2                                     // 000000002C60: 8E198219
	s_lshl_b32 s26, 0, 7                                       // 000000002C64: 8E1A8780
	v_add_u32_e32 v7, s25, v6                                  // 000000002C68: 680E0C19
	v_add_u32_e32 v7, s26, v7                                  // 000000002C6C: 680E0E1A
	buffer_store_dword v20, v7, s[16:19], 0 offen              // 000000002C70: E0701000 80041407
	v_add_u32_e32 v7, s11, v7                                  // 000000002C78: 680E0E0B
	buffer_store_dword v21, v7, s[16:19], 0 offen              // 000000002C7C: E0701000 80041507
	buffer_load_dwordx4 v[12:15], v5, s[12:15], 0 offen        // 000000002C84: E05C1000 80030C05
	v_add_u32_e32 v5, 0x100, v5                                // 000000002C8C: 680A0AFF 00000100
	s_waitcnt vmcnt(0) expcnt(0) lgkmcnt(0)                    // 000000002C94: BF8C0000
	s_barrier                                                  // 000000002C98: BF8A0000
	v_perm_b32 v22, v13, v12, s38                              // 000000002C9C: D1ED0016 009A190D
	v_perm_b32 v23, v15, v14, s38                              // 000000002CA4: D1ED0017 009A1D0F
	s_nop 1                                                    // 000000002CAC: BF800001
	s_mul_i32 s25, s24, 0x100                                  // 000000002CB0: 9219FF18 00000100
	s_lshl_b32 s25, s25, 2                                     // 000000002CB8: 8E198219
	v_mov_b32_e32 v26, v0                                      // 000000002CBC: 7E340300
	v_lshlrev_b32_e32 v26, 2, v26                              // 000000002CC0: 24343482
	v_add_u32_e64 v26, v26, s25                                // 000000002CC4: D134001A 0000331A
	v_add_u32_e32 v27, 0x100, v26                              // 000000002CCC: 683634FF 00000100
	ds_write_b32 v26, v22                                      // 000000002CD4: D81A0000 0000161A
	ds_write_b32 v27, v23                                      // 000000002CDC: D81A0000 0000171B
	s_barrier                                                  // 000000002CE4: BF8A0000
	v_lshrrev_b32_e32 v26, 4, v0                               // 000000002CE8: 20340084
	v_and_b32_e64 v27, v26, 1                                  // 000000002CEC: D113001B 0001031A
	v_lshrrev_b32_e32 v28, 1, v26                              // 000000002CF4: 20383481
	v_lshlrev_b32_e32 v26, 1, v27                              // 000000002CF8: 24343681
	v_add_u32_e32 v26, v26, v28                                // 000000002CFC: 6834391A
	v_lshlrev_b32_e32 v26, 7, v26                              // 000000002D00: 24343487
	v_and_b32_e64 v27, v0, 15                                  // 000000002D04: D113001B 00011F00
	v_lshlrev_b32_e32 v27, 2, v27                              // 000000002D0C: 24363682
	v_add_u32_e32 v26, v27, v26                                // 000000002D10: 6834351B
	v_add_u32_e64 v26, v26, s25                                // 000000002D14: D134001A 0000331A
	v_add_u32_e32 v27, 64, v26                                 // 000000002D1C: 683634C0
	ds_read_b32 v22, v26                                       // 000000002D20: D86C0000 1600001A
	ds_read_b32 v23, v27                                       // 000000002D28: D86C0000 1700001B
	s_barrier                                                  // 000000002D30: BF8A0000
	s_nop 1                                                    // 000000002D34: BF800001
	s_mul_i32 s25, s11, 3                                      // 000000002D38: 9219830B
	s_lshl_b32 s25, s25, 2                                     // 000000002D3C: 8E198219
	s_lshl_b32 s26, 1, 7                                       // 000000002D40: 8E1A8781
	v_add_u32_e32 v7, s25, v6                                  // 000000002D44: 680E0C19
	v_add_u32_e32 v7, s26, v7                                  // 000000002D48: 680E0E1A
	buffer_store_dword v22, v7, s[16:19], 0 offen              // 000000002D4C: E0701000 80041607
	v_add_u32_e32 v7, s11, v7                                  // 000000002D54: 680E0E0B
	buffer_store_dword v23, v7, s[16:19], 0 offen              // 000000002D58: E0701000 80041707
	v_mov_b32_e32 v16, 0                                       // 000000002D60: 7E200280
	v_mov_b32_e32 v17, 0                                       // 000000002D64: 7E220280
	v_mov_b32_e32 v18, 0                                       // 000000002D68: 7E240280
	v_mov_b32_e32 v19, 0                                       // 000000002D6C: 7E260280
	s_mov_b64 exec, s[30:31]                                   // 000000002D70: BEFE011E
	buffer_load_dwordx4 v[16:19], v5, s[12:15], 0 offen        // 000000002D74: E05C1000 80031005
	s_mov_b64 exec, -1                                         // 000000002D7C: BEFE01C1
	v_add_u32_e32 v5, 0x100, v5                                // 000000002D80: 680A0AFF 00000100
	s_waitcnt vmcnt(0) expcnt(0) lgkmcnt(0)                    // 000000002D88: BF8C0000
	s_barrier                                                  // 000000002D8C: BF8A0000
	v_perm_b32 v24, v17, v16, s38                              // 000000002D90: D1ED0018 009A2111
	v_perm_b32 v25, v19, v18, s38                              // 000000002D98: D1ED0019 009A2513
	s_nop 1                                                    // 000000002DA0: BF800001
	s_mul_i32 s25, s24, 0x100                                  // 000000002DA4: 9219FF18 00000100
	s_lshl_b32 s25, s25, 2                                     // 000000002DAC: 8E198219
	v_mov_b32_e32 v26, v0                                      // 000000002DB0: 7E340300
	v_lshlrev_b32_e32 v26, 2, v26                              // 000000002DB4: 24343482
	v_add_u32_e64 v26, v26, s25                                // 000000002DB8: D134001A 0000331A
	v_add_u32_e32 v27, 0x100, v26                              // 000000002DC0: 683634FF 00000100
	ds_write_b32 v26, v24                                      // 000000002DC8: D81A0000 0000181A
	ds_write_b32 v27, v25                                      // 000000002DD0: D81A0000 0000191B
	s_barrier                                                  // 000000002DD8: BF8A0000
	v_lshrrev_b32_e32 v26, 4, v0                               // 000000002DDC: 20340084
	v_and_b32_e64 v27, v26, 1                                  // 000000002DE0: D113001B 0001031A
	v_lshrrev_b32_e32 v28, 1, v26                              // 000000002DE8: 20383481
	v_lshlrev_b32_e32 v26, 1, v27                              // 000000002DEC: 24343681
	v_add_u32_e32 v26, v26, v28                                // 000000002DF0: 6834391A
	v_lshlrev_b32_e32 v26, 7, v26                              // 000000002DF4: 24343487
	v_and_b32_e64 v27, v0, 15                                  // 000000002DF8: D113001B 00011F00
	v_lshlrev_b32_e32 v27, 2, v27                              // 000000002E00: 24363682
	v_add_u32_e32 v26, v27, v26                                // 000000002E04: 6834351B
	v_add_u32_e64 v26, v26, s25                                // 000000002E08: D134001A 0000331A
	v_add_u32_e32 v27, 64, v26                                 // 000000002E10: 683634C0
	ds_read_b32 v24, v26                                       // 000000002E14: D86C0000 1800001A
	ds_read_b32 v25, v27                                       // 000000002E1C: D86C0000 1900001B
	s_barrier                                                  // 000000002E24: BF8A0000
	s_nop 1                                                    // 000000002E28: BF800001
	s_mul_i32 s25, s11, 3                                      // 000000002E2C: 9219830B
	s_lshl_b32 s25, s25, 2                                     // 000000002E30: 8E198219
	s_lshl_b32 s26, 2, 7                                       // 000000002E34: 8E1A8782
	v_add_u32_e32 v7, s25, v6                                  // 000000002E38: 680E0C19
	v_add_u32_e32 v7, s26, v7                                  // 000000002E3C: 680E0E1A
	s_mov_b64 exec, s[32:33]                                   // 000000002E40: BEFE0120
	buffer_store_dword v24, v7, s[16:19], 0 offen              // 000000002E44: E0701000 80041807
	v_add_u32_e32 v7, s11, v7                                  // 000000002E4C: 680E0E0B
	buffer_store_dword v25, v7, s[16:19], 0 offen              // 000000002E50: E0701000 80041907
	s_mov_b64 exec, -1                                         // 000000002E58: BEFE01C1

0000000000002e5c <label_0357>:
	s_waitcnt vmcnt(0) expcnt(0) lgkmcnt(0)                    // 000000002E5C: BF8C0000
	s_endpgm                                                   // 000000002E60: BF810000
